;; amdgpu-corpus repo=ROCm/rocFFT kind=compiled arch=gfx1030 opt=O3
	.text
	.amdgcn_target "amdgcn-amd-amdhsa--gfx1030"
	.amdhsa_code_object_version 6
	.protected	fft_rtc_fwd_len900_factors_10_10_3_3_wgs_180_tpt_90_halfLds_dp_op_CI_CI_unitstride_sbrr_R2C_dirReg ; -- Begin function fft_rtc_fwd_len900_factors_10_10_3_3_wgs_180_tpt_90_halfLds_dp_op_CI_CI_unitstride_sbrr_R2C_dirReg
	.globl	fft_rtc_fwd_len900_factors_10_10_3_3_wgs_180_tpt_90_halfLds_dp_op_CI_CI_unitstride_sbrr_R2C_dirReg
	.p2align	8
	.type	fft_rtc_fwd_len900_factors_10_10_3_3_wgs_180_tpt_90_halfLds_dp_op_CI_CI_unitstride_sbrr_R2C_dirReg,@function
fft_rtc_fwd_len900_factors_10_10_3_3_wgs_180_tpt_90_halfLds_dp_op_CI_CI_unitstride_sbrr_R2C_dirReg: ; @fft_rtc_fwd_len900_factors_10_10_3_3_wgs_180_tpt_90_halfLds_dp_op_CI_CI_unitstride_sbrr_R2C_dirReg
; %bb.0:
	s_clause 0x2
	s_load_dwordx4 s[12:15], s[4:5], 0x0
	s_load_dwordx4 s[8:11], s[4:5], 0x58
	;; [unrolled: 1-line block ×3, first 2 shown]
	v_mul_u32_u24_e32 v1, 0x2d9, v0
	v_mov_b32_e32 v3, 0
	v_lshrrev_b32_e32 v7, 16, v1
	v_mov_b32_e32 v1, 0
	v_mov_b32_e32 v6, v3
	v_mov_b32_e32 v2, 0
	v_lshl_add_u32 v5, s6, 1, v7
	s_waitcnt lgkmcnt(0)
	v_cmp_lt_u64_e64 s0, s[14:15], 2
	s_and_b32 vcc_lo, exec_lo, s0
	s_cbranch_vccnz .LBB0_8
; %bb.1:
	s_load_dwordx2 s[0:1], s[4:5], 0x10
	v_mov_b32_e32 v1, 0
	v_mov_b32_e32 v2, 0
	s_add_u32 s2, s18, 8
	s_addc_u32 s3, s19, 0
	s_add_u32 s6, s16, 8
	s_addc_u32 s7, s17, 0
	v_mov_b32_e32 v49, v2
	v_mov_b32_e32 v48, v1
	s_mov_b64 s[22:23], 1
	s_waitcnt lgkmcnt(0)
	s_add_u32 s20, s0, 8
	s_addc_u32 s21, s1, 0
.LBB0_2:                                ; =>This Inner Loop Header: Depth=1
	s_load_dwordx2 s[24:25], s[20:21], 0x0
                                        ; implicit-def: $vgpr52_vgpr53
	s_mov_b32 s0, exec_lo
	s_waitcnt lgkmcnt(0)
	v_or_b32_e32 v4, s25, v6
	v_cmpx_ne_u64_e32 0, v[3:4]
	s_xor_b32 s1, exec_lo, s0
	s_cbranch_execz .LBB0_4
; %bb.3:                                ;   in Loop: Header=BB0_2 Depth=1
	v_cvt_f32_u32_e32 v4, s24
	v_cvt_f32_u32_e32 v8, s25
	s_sub_u32 s0, 0, s24
	s_subb_u32 s26, 0, s25
	v_fmac_f32_e32 v4, 0x4f800000, v8
	v_rcp_f32_e32 v4, v4
	v_mul_f32_e32 v4, 0x5f7ffffc, v4
	v_mul_f32_e32 v8, 0x2f800000, v4
	v_trunc_f32_e32 v8, v8
	v_fmac_f32_e32 v4, 0xcf800000, v8
	v_cvt_u32_f32_e32 v8, v8
	v_cvt_u32_f32_e32 v4, v4
	v_mul_lo_u32 v9, s0, v8
	v_mul_hi_u32 v10, s0, v4
	v_mul_lo_u32 v11, s26, v4
	v_add_nc_u32_e32 v9, v10, v9
	v_mul_lo_u32 v10, s0, v4
	v_add_nc_u32_e32 v9, v9, v11
	v_mul_hi_u32 v11, v4, v10
	v_mul_lo_u32 v12, v4, v9
	v_mul_hi_u32 v13, v4, v9
	v_mul_hi_u32 v14, v8, v10
	v_mul_lo_u32 v10, v8, v10
	v_mul_hi_u32 v15, v8, v9
	v_mul_lo_u32 v9, v8, v9
	v_add_co_u32 v11, vcc_lo, v11, v12
	v_add_co_ci_u32_e32 v12, vcc_lo, 0, v13, vcc_lo
	v_add_co_u32 v10, vcc_lo, v11, v10
	v_add_co_ci_u32_e32 v10, vcc_lo, v12, v14, vcc_lo
	v_add_co_ci_u32_e32 v11, vcc_lo, 0, v15, vcc_lo
	v_add_co_u32 v9, vcc_lo, v10, v9
	v_add_co_ci_u32_e32 v10, vcc_lo, 0, v11, vcc_lo
	v_add_co_u32 v4, vcc_lo, v4, v9
	v_add_co_ci_u32_e32 v8, vcc_lo, v8, v10, vcc_lo
	v_mul_hi_u32 v9, s0, v4
	v_mul_lo_u32 v11, s26, v4
	v_mul_lo_u32 v10, s0, v8
	v_add_nc_u32_e32 v9, v9, v10
	v_mul_lo_u32 v10, s0, v4
	v_add_nc_u32_e32 v9, v9, v11
	v_mul_hi_u32 v11, v4, v10
	v_mul_lo_u32 v12, v4, v9
	v_mul_hi_u32 v13, v4, v9
	v_mul_hi_u32 v14, v8, v10
	v_mul_lo_u32 v10, v8, v10
	v_mul_hi_u32 v15, v8, v9
	v_mul_lo_u32 v9, v8, v9
	v_add_co_u32 v11, vcc_lo, v11, v12
	v_add_co_ci_u32_e32 v12, vcc_lo, 0, v13, vcc_lo
	v_add_co_u32 v10, vcc_lo, v11, v10
	v_add_co_ci_u32_e32 v10, vcc_lo, v12, v14, vcc_lo
	v_add_co_ci_u32_e32 v11, vcc_lo, 0, v15, vcc_lo
	v_add_co_u32 v9, vcc_lo, v10, v9
	v_add_co_ci_u32_e32 v10, vcc_lo, 0, v11, vcc_lo
	v_add_co_u32 v4, vcc_lo, v4, v9
	v_add_co_ci_u32_e32 v12, vcc_lo, v8, v10, vcc_lo
	v_mul_hi_u32 v14, v5, v4
	v_mad_u64_u32 v[10:11], null, v6, v4, 0
	v_mad_u64_u32 v[8:9], null, v5, v12, 0
	v_mad_u64_u32 v[12:13], null, v6, v12, 0
	v_add_co_u32 v4, vcc_lo, v14, v8
	v_add_co_ci_u32_e32 v8, vcc_lo, 0, v9, vcc_lo
	v_add_co_u32 v4, vcc_lo, v4, v10
	v_add_co_ci_u32_e32 v4, vcc_lo, v8, v11, vcc_lo
	v_add_co_ci_u32_e32 v8, vcc_lo, 0, v13, vcc_lo
	v_add_co_u32 v4, vcc_lo, v4, v12
	v_add_co_ci_u32_e32 v10, vcc_lo, 0, v8, vcc_lo
	v_mul_lo_u32 v11, s25, v4
	v_mad_u64_u32 v[8:9], null, s24, v4, 0
	v_mul_lo_u32 v12, s24, v10
	v_sub_co_u32 v8, vcc_lo, v5, v8
	v_add3_u32 v9, v9, v12, v11
	v_sub_nc_u32_e32 v11, v6, v9
	v_subrev_co_ci_u32_e64 v11, s0, s25, v11, vcc_lo
	v_add_co_u32 v12, s0, v4, 2
	v_add_co_ci_u32_e64 v13, s0, 0, v10, s0
	v_sub_co_u32 v14, s0, v8, s24
	v_sub_co_ci_u32_e32 v9, vcc_lo, v6, v9, vcc_lo
	v_subrev_co_ci_u32_e64 v11, s0, 0, v11, s0
	v_cmp_le_u32_e32 vcc_lo, s24, v14
	v_cmp_eq_u32_e64 s0, s25, v9
	v_cndmask_b32_e64 v14, 0, -1, vcc_lo
	v_cmp_le_u32_e32 vcc_lo, s25, v11
	v_cndmask_b32_e64 v15, 0, -1, vcc_lo
	v_cmp_le_u32_e32 vcc_lo, s24, v8
	;; [unrolled: 2-line block ×3, first 2 shown]
	v_cndmask_b32_e64 v16, 0, -1, vcc_lo
	v_cmp_eq_u32_e32 vcc_lo, s25, v11
	v_cndmask_b32_e64 v8, v16, v8, s0
	v_cndmask_b32_e32 v11, v15, v14, vcc_lo
	v_add_co_u32 v14, vcc_lo, v4, 1
	v_add_co_ci_u32_e32 v15, vcc_lo, 0, v10, vcc_lo
	v_cmp_ne_u32_e32 vcc_lo, 0, v11
	v_cndmask_b32_e32 v9, v15, v13, vcc_lo
	v_cndmask_b32_e32 v11, v14, v12, vcc_lo
	v_cmp_ne_u32_e32 vcc_lo, 0, v8
	v_cndmask_b32_e32 v53, v10, v9, vcc_lo
	v_cndmask_b32_e32 v52, v4, v11, vcc_lo
.LBB0_4:                                ;   in Loop: Header=BB0_2 Depth=1
	s_andn2_saveexec_b32 s0, s1
	s_cbranch_execz .LBB0_6
; %bb.5:                                ;   in Loop: Header=BB0_2 Depth=1
	v_cvt_f32_u32_e32 v4, s24
	s_sub_i32 s1, 0, s24
	v_mov_b32_e32 v53, v3
	v_rcp_iflag_f32_e32 v4, v4
	v_mul_f32_e32 v4, 0x4f7ffffe, v4
	v_cvt_u32_f32_e32 v4, v4
	v_mul_lo_u32 v8, s1, v4
	v_mul_hi_u32 v8, v4, v8
	v_add_nc_u32_e32 v4, v4, v8
	v_mul_hi_u32 v4, v5, v4
	v_mul_lo_u32 v8, v4, s24
	v_add_nc_u32_e32 v9, 1, v4
	v_sub_nc_u32_e32 v8, v5, v8
	v_subrev_nc_u32_e32 v10, s24, v8
	v_cmp_le_u32_e32 vcc_lo, s24, v8
	v_cndmask_b32_e32 v8, v8, v10, vcc_lo
	v_cndmask_b32_e32 v4, v4, v9, vcc_lo
	v_cmp_le_u32_e32 vcc_lo, s24, v8
	v_add_nc_u32_e32 v9, 1, v4
	v_cndmask_b32_e32 v52, v4, v9, vcc_lo
.LBB0_6:                                ;   in Loop: Header=BB0_2 Depth=1
	s_or_b32 exec_lo, exec_lo, s0
	v_mul_lo_u32 v4, v53, s24
	v_mul_lo_u32 v10, v52, s25
	s_load_dwordx2 s[0:1], s[6:7], 0x0
	v_mad_u64_u32 v[8:9], null, v52, s24, 0
	s_load_dwordx2 s[24:25], s[2:3], 0x0
	s_add_u32 s22, s22, 1
	s_addc_u32 s23, s23, 0
	s_add_u32 s2, s2, 8
	s_addc_u32 s3, s3, 0
	s_add_u32 s6, s6, 8
	v_add3_u32 v4, v9, v10, v4
	v_sub_co_u32 v5, vcc_lo, v5, v8
	s_addc_u32 s7, s7, 0
	s_add_u32 s20, s20, 8
	v_sub_co_ci_u32_e32 v4, vcc_lo, v6, v4, vcc_lo
	s_addc_u32 s21, s21, 0
	s_waitcnt lgkmcnt(0)
	v_mul_lo_u32 v6, s0, v4
	v_mul_lo_u32 v8, s1, v5
	v_mad_u64_u32 v[1:2], null, s0, v5, v[1:2]
	v_mul_lo_u32 v4, s24, v4
	v_mul_lo_u32 v9, s25, v5
	v_mad_u64_u32 v[48:49], null, s24, v5, v[48:49]
	v_cmp_ge_u64_e64 s0, s[22:23], s[14:15]
	v_add3_u32 v2, v8, v2, v6
	v_add3_u32 v49, v9, v49, v4
	s_and_b32 vcc_lo, exec_lo, s0
	s_cbranch_vccnz .LBB0_9
; %bb.7:                                ;   in Loop: Header=BB0_2 Depth=1
	v_mov_b32_e32 v5, v52
	v_mov_b32_e32 v6, v53
	s_branch .LBB0_2
.LBB0_8:
	v_mov_b32_e32 v49, v2
	v_mov_b32_e32 v53, v6
	;; [unrolled: 1-line block ×4, first 2 shown]
.LBB0_9:
	s_load_dwordx2 s[0:1], s[4:5], 0x28
	v_and_b32_e32 v4, 1, v7
	v_mul_hi_u32 v3, 0x2d82d83, v0
	s_lshl_b64 s[4:5], s[14:15], 3
                                        ; implicit-def: $vgpr50
                                        ; implicit-def: $vgpr54
                                        ; implicit-def: $vgpr57
                                        ; implicit-def: $vgpr56
	s_add_u32 s2, s18, s4
	s_addc_u32 s3, s19, s5
	s_waitcnt lgkmcnt(0)
	v_cmp_gt_u64_e32 vcc_lo, s[0:1], v[52:53]
	v_cmp_le_u64_e64 s1, s[0:1], v[52:53]
	v_cmp_eq_u32_e64 s0, 1, v4
	s_and_saveexec_b32 s6, s1
	s_xor_b32 s1, exec_lo, s6
; %bb.10:
	v_mul_u32_u24_e32 v1, 0x5a, v3
                                        ; implicit-def: $vgpr3
	v_sub_nc_u32_e32 v50, v0, v1
                                        ; implicit-def: $vgpr0
                                        ; implicit-def: $vgpr1_vgpr2
	v_add_nc_u32_e32 v54, 0x5a, v50
	v_add_nc_u32_e32 v57, 0xb4, v50
	;; [unrolled: 1-line block ×3, first 2 shown]
; %bb.11:
	s_or_saveexec_b32 s1, s1
	v_cndmask_b32_e64 v4, 0, 0x385, s0
	v_lshlrev_b32_e32 v60, 4, v4
	s_xor_b32 exec_lo, exec_lo, s1
	s_cbranch_execz .LBB0_13
; %bb.12:
	s_add_u32 s4, s16, s4
	s_addc_u32 s5, s17, s5
	v_lshlrev_b64 v[1:2], 4, v[1:2]
	s_load_dwordx2 s[4:5], s[4:5], 0x0
	s_waitcnt lgkmcnt(0)
	v_mul_lo_u32 v6, s5, v52
	v_mul_lo_u32 v7, s4, v53
	v_mad_u64_u32 v[4:5], null, s4, v52, 0
	v_add3_u32 v5, v5, v7, v6
	v_mul_u32_u24_e32 v6, 0x5a, v3
	v_lshlrev_b64 v[3:4], 4, v[4:5]
	v_sub_nc_u32_e32 v50, v0, v6
	v_lshlrev_b32_e32 v40, 4, v50
	v_add_co_u32 v0, s0, s8, v3
	v_add_co_ci_u32_e64 v3, s0, s9, v4, s0
	v_add_nc_u32_e32 v54, 0x5a, v50
	v_add_co_u32 v0, s0, v0, v1
	v_add_co_ci_u32_e64 v1, s0, v3, v2, s0
	v_add_nc_u32_e32 v57, 0xb4, v50
	v_add_co_u32 v8, s0, v0, v40
	v_add_co_ci_u32_e64 v9, s0, 0, v1, s0
	s_clause 0x1
	global_load_dwordx4 v[0:3], v[8:9], off
	global_load_dwordx4 v[4:7], v[8:9], off offset:1440
	v_add_co_u32 v10, s0, 0x800, v8
	v_add_co_ci_u32_e64 v11, s0, 0, v9, s0
	v_add_co_u32 v16, s0, 0x1000, v8
	v_add_co_ci_u32_e64 v17, s0, 0, v9, s0
	;; [unrolled: 2-line block ×6, first 2 shown]
	s_clause 0x7
	global_load_dwordx4 v[8:11], v[10:11], off offset:832
	global_load_dwordx4 v[12:15], v[16:17], off offset:224
	;; [unrolled: 1-line block ×8, first 2 shown]
	v_add3_u32 v40, 0, v60, v40
	v_add_nc_u32_e32 v56, 0x10e, v50
	s_waitcnt vmcnt(9)
	ds_write_b128 v40, v[0:3]
	s_waitcnt vmcnt(8)
	ds_write_b128 v40, v[4:7] offset:1440
	s_waitcnt vmcnt(7)
	ds_write_b128 v40, v[8:11] offset:2880
	;; [unrolled: 2-line block ×9, first 2 shown]
.LBB0_13:
	s_or_b32 exec_lo, exec_lo, s1
	v_lshlrev_b32_e32 v51, 4, v50
	s_load_dwordx2 s[2:3], s[2:3], 0x0
	s_waitcnt lgkmcnt(0)
	s_barrier
	buffer_gl0_inv
	v_add3_u32 v55, 0, v51, v60
	v_add_nc_u32_e32 v62, 0, v60
	s_mov_b32 s0, 0x134454ff
	s_mov_b32 s1, 0x3fee6f0e
	;; [unrolled: 1-line block ×3, first 2 shown]
	ds_read_b128 v[16:19], v55 offset:7200
	ds_read_b128 v[8:11], v55 offset:10080
	;; [unrolled: 1-line block ×4, first 2 shown]
	v_add_nc_u32_e32 v63, v62, v51
	ds_read_b128 v[24:27], v55 offset:2880
	ds_read_b128 v[20:23], v55 offset:5760
	ds_read_b128 v[28:31], v63
	ds_read_b128 v[12:15], v55 offset:8640
	ds_read_b128 v[4:7], v55 offset:11520
	;; [unrolled: 1-line block ×3, first 2 shown]
	s_mov_b32 s4, s0
	s_mov_b32 s6, 0x4755a5e
	;; [unrolled: 1-line block ×9, first 2 shown]
	v_and_b32_e32 v61, 0xff, v50
	s_waitcnt lgkmcnt(0)
	s_barrier
	v_add_f64 v[40:41], v[16:17], v[8:9]
	v_add_f64 v[46:47], v[18:19], v[10:11]
	;; [unrolled: 1-line block ×4, first 2 shown]
	v_add_f64 v[70:71], v[34:35], -v[2:3]
	v_add_f64 v[66:67], v[20:21], v[12:13]
	v_add_f64 v[68:69], v[24:25], v[4:5]
	v_add_f64 v[74:75], v[18:19], -v[10:11]
	v_add_f64 v[76:77], v[16:17], -v[8:9]
	v_add_f64 v[72:73], v[22:23], v[14:15]
	v_add_f64 v[78:79], v[26:27], v[6:7]
	v_add_f64 v[86:87], v[32:33], -v[0:1]
	v_add_f64 v[88:89], v[32:33], -v[16:17]
	;; [unrolled: 1-line block ×6, first 2 shown]
	v_add_f64 v[58:59], v[28:29], v[24:25]
	v_add_f64 v[102:103], v[2:3], -v[10:11]
	v_add_f64 v[64:65], v[30:31], v[26:27]
	v_add_f64 v[80:81], v[24:25], -v[20:21]
	v_add_f64 v[82:83], v[20:21], -v[24:25]
	v_fma_f64 v[40:41], v[40:41], -0.5, v[36:37]
	v_fma_f64 v[46:47], v[46:47], -0.5, v[38:39]
	;; [unrolled: 1-line block ×4, first 2 shown]
	v_add_f64 v[36:37], v[36:37], v[32:33]
	v_add_f64 v[32:33], v[16:17], -v[32:33]
	v_add_f64 v[38:39], v[38:39], v[34:35]
	v_add_f64 v[34:35], v[34:35], -v[18:19]
	v_fma_f64 v[66:67], v[66:67], -0.5, v[28:29]
	v_fma_f64 v[28:29], v[68:69], -0.5, v[28:29]
	;; [unrolled: 1-line block ×4, first 2 shown]
	v_add_f64 v[92:93], v[26:27], -v[6:7]
	v_add_f64 v[24:25], v[24:25], -v[4:5]
	v_add_f64 v[88:89], v[88:89], v[90:91]
	v_add_f64 v[84:85], v[26:27], -v[22:23]
	v_add_f64 v[96:97], v[96:97], v[98:99]
	v_add_f64 v[106:107], v[4:5], -v[12:13]
	v_add_f64 v[90:91], v[12:13], -v[4:5]
	;; [unrolled: 1-line block ×3, first 2 shown]
	v_mul_lo_u16 v61, 0xcd, v61
	buffer_gl0_inv
	v_fma_f64 v[100:101], v[70:71], s[0:1], v[40:41]
	v_fma_f64 v[40:41], v[70:71], s[4:5], v[40:41]
	;; [unrolled: 1-line block ×7, first 2 shown]
	v_add_f64 v[32:33], v[32:33], v[94:95]
	v_add_f64 v[94:95], v[22:23], -v[14:15]
	v_fma_f64 v[46:47], v[86:87], s[4:5], v[46:47]
	v_add_f64 v[34:35], v[34:35], v[102:103]
	v_add_f64 v[102:103], v[20:21], -v[12:13]
	v_add_f64 v[20:21], v[58:59], v[20:21]
	v_add_f64 v[22:23], v[64:65], v[22:23]
	;; [unrolled: 1-line block ×4, first 2 shown]
	v_fma_f64 v[64:65], v[92:93], s[0:1], v[66:67]
	v_fma_f64 v[66:67], v[92:93], s[4:5], v[66:67]
	v_add_f64 v[36:37], v[80:81], v[106:107]
	v_add_f64 v[38:39], v[82:83], v[90:91]
	v_fma_f64 v[98:99], v[74:75], s[6:7], v[100:101]
	v_add_f64 v[100:101], v[6:7], -v[14:15]
	v_fma_f64 v[68:69], v[86:87], s[8:9], v[68:69]
	v_fma_f64 v[104:105], v[70:71], s[6:7], v[104:105]
	;; [unrolled: 1-line block ×9, first 2 shown]
	v_add_f64 v[70:71], v[14:15], -v[6:7]
	v_fma_f64 v[28:29], v[94:95], s[0:1], v[28:29]
	v_fma_f64 v[82:83], v[102:103], s[0:1], v[30:31]
	;; [unrolled: 1-line block ×4, first 2 shown]
	v_add_f64 v[12:13], v[20:21], v[12:13]
	v_add_f64 v[14:15], v[22:23], v[14:15]
	;; [unrolled: 1-line block ×4, first 2 shown]
	v_fma_f64 v[16:17], v[94:95], s[6:7], v[64:65]
	v_fma_f64 v[18:19], v[94:95], s[8:9], v[66:67]
	;; [unrolled: 1-line block ×3, first 2 shown]
	v_add_f64 v[80:81], v[84:85], v[100:101]
	v_fma_f64 v[68:69], v[96:97], s[14:15], v[68:69]
	v_fma_f64 v[84:85], v[32:33], s[14:15], v[104:105]
	;; [unrolled: 1-line block ×9, first 2 shown]
	v_add_f64 v[26:27], v[26:27], v[70:71]
	v_fma_f64 v[28:29], v[92:93], s[8:9], v[28:29]
	v_fma_f64 v[64:65], v[24:25], s[8:9], v[82:83]
	;; [unrolled: 1-line block ×4, first 2 shown]
	v_add_f64 v[12:13], v[12:13], v[4:5]
	v_add_f64 v[14:15], v[14:15], v[6:7]
	;; [unrolled: 1-line block ×4, first 2 shown]
	v_fma_f64 v[3:4], v[36:37], s[14:15], v[16:17]
	v_fma_f64 v[86:87], v[36:37], s[14:15], v[18:19]
	v_mul_f64 v[46:47], v[76:77], s[16:17]
	v_mul_f64 v[58:59], v[76:77], s[8:9]
	;; [unrolled: 1-line block ×8, first 2 shown]
	v_fma_f64 v[36:37], v[38:39], s[14:15], v[20:21]
	v_fma_f64 v[19:20], v[80:81], s[14:15], v[22:23]
	v_lshrrev_b16 v0, 11, v61
	v_fma_f64 v[38:39], v[38:39], s[14:15], v[28:29]
	v_fma_f64 v[28:29], v[26:27], s[14:15], v[64:65]
	;; [unrolled: 1-line block ×3, first 2 shown]
	v_mul_lo_u16 v61, v0, 10
	v_add_f64 v[5:6], v[12:13], v[82:83]
	v_add_f64 v[7:8], v[14:15], v[1:2]
	v_add_f64 v[9:10], v[12:13], -v[82:83]
	v_add_f64 v[11:12], v[14:15], -v[1:2]
	v_fma_f64 v[17:18], v[34:35], s[6:7], v[46:47]
	v_fma_f64 v[21:22], v[34:35], s[16:17], v[58:59]
	;; [unrolled: 1-line block ×5, first 2 shown]
	v_fma_f64 v[42:43], v[42:43], s[0:1], -v[72:73]
	v_fma_f64 v[66:67], v[32:33], s[4:5], -v[74:75]
	;; [unrolled: 1-line block ×4, first 2 shown]
	v_mov_b32_e32 v1, 9
	v_mad_u32_u24 v2, 0x90, v50, v55
	v_add_f64 v[13:14], v[3:4], v[17:18]
	v_add_f64 v[15:16], v[19:20], v[21:22]
	v_add_f64 v[19:20], v[19:20], -v[21:22]
	v_add_f64 v[21:22], v[36:37], v[34:35]
	v_add_f64 v[23:24], v[28:29], v[46:47]
	v_add_f64 v[27:28], v[28:29], -v[46:47]
	;; [unrolled: 3-line block ×4, first 2 shown]
	v_sub_nc_u16 v4, v50, v61
	v_add_f64 v[37:38], v[38:39], -v[42:43]
	v_add_f64 v[39:40], v[58:59], -v[66:67]
	;; [unrolled: 1-line block ×4, first 2 shown]
	v_mul_u32_u24_sdwa v1, v4, v1 dst_sel:DWORD dst_unused:UNUSED_PAD src0_sel:BYTE_0 src1_sel:DWORD
	v_lshl_add_u32 v64, v56, 4, v62
	v_lshl_add_u32 v65, v57, 4, v62
	;; [unrolled: 1-line block ×3, first 2 shown]
	ds_write_b128 v2, v[5:8]
	ds_write_b128 v2, v[9:12] offset:80
	ds_write_b128 v2, v[13:16] offset:16
	;; [unrolled: 1-line block ×9, first 2 shown]
	v_lshlrev_b32_e32 v1, 4, v1
	s_waitcnt lgkmcnt(0)
	s_barrier
	buffer_gl0_inv
	s_clause 0x8
	global_load_dwordx4 v[5:8], v1, s[12:13] offset:32
	global_load_dwordx4 v[9:12], v1, s[12:13] offset:64
	;; [unrolled: 1-line block ×8, first 2 shown]
	global_load_dwordx4 v[37:40], v1, s[12:13]
	ds_read_b128 v[41:44], v64
	ds_read_b128 v[67:70], v55 offset:7200
	ds_read_b128 v[71:74], v55 offset:10080
	;; [unrolled: 1-line block ×3, first 2 shown]
	ds_read_b128 v[79:82], v65
	ds_read_b128 v[83:86], v55 offset:5760
	ds_read_b128 v[87:90], v55 offset:8640
	;; [unrolled: 1-line block ×3, first 2 shown]
	ds_read_b128 v[95:98], v66
	v_mov_b32_e32 v61, 4
	v_and_b32_e32 v47, 0xffff, v0
	v_lshlrev_b32_sdwa v4, v61, v4 dst_sel:DWORD dst_unused:UNUSED_PAD src0_sel:DWORD src1_sel:BYTE_0
	s_waitcnt vmcnt(8) lgkmcnt(8)
	v_mul_f64 v[1:2], v[43:44], v[7:8]
	v_mul_f64 v[7:8], v[41:42], v[7:8]
	s_waitcnt vmcnt(7) lgkmcnt(7)
	v_mul_f64 v[45:46], v[69:70], v[11:12]
	v_mul_f64 v[11:12], v[67:68], v[11:12]
	s_waitcnt vmcnt(6) lgkmcnt(6)
	v_mul_f64 v[58:59], v[73:74], v[15:16]
	s_waitcnt vmcnt(5) lgkmcnt(5)
	v_mul_f64 v[99:100], v[77:78], v[19:20]
	v_mul_f64 v[15:16], v[71:72], v[15:16]
	;; [unrolled: 1-line block ×3, first 2 shown]
	s_waitcnt vmcnt(3) lgkmcnt(3)
	v_mul_f64 v[101:102], v[85:86], v[27:28]
	v_mul_f64 v[27:28], v[83:84], v[27:28]
	v_fma_f64 v[1:2], v[41:42], v[5:6], -v[1:2]
	v_fma_f64 v[41:42], v[43:44], v[5:6], v[7:8]
	v_mul_f64 v[43:44], v[81:82], v[23:24]
	v_fma_f64 v[45:46], v[67:68], v[9:10], -v[45:46]
	v_fma_f64 v[9:10], v[69:70], v[9:10], v[11:12]
	s_waitcnt vmcnt(2) lgkmcnt(2)
	v_mul_f64 v[11:12], v[89:90], v[31:32]
	v_mul_f64 v[31:32], v[87:88], v[31:32]
	s_waitcnt vmcnt(1) lgkmcnt(1)
	v_mul_f64 v[67:68], v[93:94], v[35:36]
	s_waitcnt vmcnt(0) lgkmcnt(0)
	v_mul_f64 v[69:70], v[97:98], v[39:40]
	v_fma_f64 v[58:59], v[71:72], v[13:14], -v[58:59]
	v_fma_f64 v[71:72], v[75:76], v[17:18], -v[99:100]
	v_fma_f64 v[13:14], v[73:74], v[13:14], v[15:16]
	v_mul_f64 v[15:16], v[79:80], v[23:24]
	v_mul_f64 v[23:24], v[95:96], v[39:40]
	;; [unrolled: 1-line block ×3, first 2 shown]
	v_fma_f64 v[17:18], v[77:78], v[17:18], v[19:20]
	v_fma_f64 v[39:40], v[83:84], v[25:26], -v[101:102]
	v_fma_f64 v[25:26], v[85:86], v[25:26], v[27:28]
	ds_read_b128 v[5:8], v63
	s_waitcnt lgkmcnt(0)
	s_barrier
	buffer_gl0_inv
	v_fma_f64 v[19:20], v[79:80], v[21:22], -v[43:44]
	v_add_f64 v[99:100], v[45:46], -v[1:2]
	v_add_f64 v[103:104], v[9:10], -v[41:42]
	v_fma_f64 v[11:12], v[87:88], v[29:30], -v[11:12]
	v_fma_f64 v[29:30], v[89:90], v[29:30], v[31:32]
	v_fma_f64 v[27:28], v[91:92], v[33:34], -v[67:68]
	v_fma_f64 v[31:32], v[95:96], v[37:38], -v[69:70]
	v_add_f64 v[83:84], v[45:46], -v[58:59]
	v_add_f64 v[43:44], v[1:2], v[71:72]
	v_add_f64 v[75:76], v[9:10], -v[13:14]
	v_fma_f64 v[15:16], v[81:82], v[21:22], v[15:16]
	v_fma_f64 v[21:22], v[97:98], v[37:38], v[23:24]
	v_add_f64 v[23:24], v[9:10], v[13:14]
	v_add_f64 v[37:38], v[45:46], v[58:59]
	v_fma_f64 v[33:34], v[93:94], v[33:34], v[35:36]
	v_add_f64 v[35:36], v[41:42], v[17:18]
	v_add_f64 v[77:78], v[41:42], -v[17:18]
	v_add_f64 v[79:80], v[1:2], -v[71:72]
	;; [unrolled: 1-line block ×6, first 2 shown]
	v_add_f64 v[87:88], v[5:6], v[19:20]
	v_add_f64 v[101:102], v[58:59], -v[71:72]
	v_add_f64 v[105:106], v[13:14], -v[17:18]
	v_add_f64 v[67:68], v[39:40], v[11:12]
	v_add_f64 v[73:74], v[25:26], v[29:30]
	;; [unrolled: 1-line block ×4, first 2 shown]
	v_add_f64 v[85:86], v[19:20], -v[39:40]
	v_fma_f64 v[43:44], v[43:44], -0.5, v[31:32]
	v_add_f64 v[109:110], v[27:28], -v[11:12]
	v_add_f64 v[89:90], v[7:8], v[15:16]
	v_fma_f64 v[23:24], v[23:24], -0.5, v[21:22]
	v_fma_f64 v[37:38], v[37:38], -0.5, v[31:32]
	v_add_f64 v[81:82], v[15:16], v[33:34]
	v_fma_f64 v[35:36], v[35:36], -0.5, v[21:22]
	v_add_f64 v[21:22], v[21:22], v[41:42]
	v_add_f64 v[41:42], v[15:16], -v[25:26]
	v_add_f64 v[91:92], v[91:92], v[93:94]
	v_add_f64 v[93:94], v[33:34], -v[29:30]
	;; [unrolled: 2-line block ×4, first 2 shown]
	v_fma_f64 v[31:32], v[67:68], -0.5, v[5:6]
	v_fma_f64 v[73:74], v[73:74], -0.5, v[7:8]
	;; [unrolled: 1-line block ×3, first 2 shown]
	v_add_f64 v[103:104], v[103:104], v[105:106]
	v_add_f64 v[105:106], v[19:20], -v[27:28]
	v_fma_f64 v[67:68], v[75:76], s[4:5], v[43:44]
	v_fma_f64 v[43:44], v[75:76], s[0:1], v[43:44]
	v_add_f64 v[19:20], v[39:40], -v[19:20]
	v_add_f64 v[15:16], v[25:26], -v[15:16]
	v_fma_f64 v[69:70], v[79:80], s[4:5], v[23:24]
	v_fma_f64 v[107:108], v[77:78], s[0:1], v[37:38]
	v_fma_f64 v[7:8], v[81:82], -0.5, v[7:8]
	v_fma_f64 v[81:82], v[83:84], s[0:1], v[35:36]
	v_fma_f64 v[35:36], v[83:84], s[4:5], v[35:36]
	;; [unrolled: 1-line block ×4, first 2 shown]
	v_add_f64 v[25:26], v[89:90], v[25:26]
	v_add_f64 v[1:2], v[1:2], v[45:46]
	;; [unrolled: 1-line block ×4, first 2 shown]
	v_fma_f64 v[21:22], v[101:102], s[0:1], v[31:32]
	v_fma_f64 v[31:32], v[101:102], s[4:5], v[31:32]
	;; [unrolled: 1-line block ×5, first 2 shown]
	v_add_f64 v[77:78], v[39:40], -v[11:12]
	v_add_f64 v[39:40], v[87:88], v[39:40]
	v_fma_f64 v[69:70], v[83:84], s[8:9], v[69:70]
	v_fma_f64 v[107:108], v[75:76], s[6:7], v[107:108]
	;; [unrolled: 1-line block ×7, first 2 shown]
	v_add_f64 v[75:76], v[29:30], -v[33:34]
	v_add_f64 v[79:80], v[11:12], -v[27:28]
	v_add_f64 v[83:84], v[85:86], v[109:110]
	v_fma_f64 v[85:86], v[97:98], s[4:5], v[5:6]
	v_fma_f64 v[5:6], v[97:98], s[0:1], v[5:6]
	v_add_f64 v[25:26], v[25:26], v[29:30]
	v_add_f64 v[1:2], v[1:2], v[58:59]
	v_add_f64 v[9:10], v[9:10], v[13:14]
	v_fma_f64 v[13:14], v[97:98], s[6:7], v[21:22]
	v_fma_f64 v[31:32], v[97:98], s[8:9], v[31:32]
	;; [unrolled: 1-line block ×8, first 2 shown]
	v_add_f64 v[11:12], v[39:40], v[11:12]
	v_fma_f64 v[81:82], v[103:104], s[14:15], v[81:82]
	v_fma_f64 v[35:36], v[103:104], s[14:15], v[35:36]
	;; [unrolled: 1-line block ×4, first 2 shown]
	v_add_f64 v[15:16], v[15:16], v[75:76]
	v_fma_f64 v[21:22], v[77:78], s[8:9], v[45:46]
	v_add_f64 v[19:20], v[19:20], v[79:80]
	v_fma_f64 v[29:30], v[101:102], s[6:7], v[85:86]
	v_fma_f64 v[5:6], v[101:102], s[8:9], v[5:6]
	;; [unrolled: 1-line block ×3, first 2 shown]
	v_add_f64 v[25:26], v[25:26], v[33:34]
	v_add_f64 v[1:2], v[1:2], v[71:72]
	;; [unrolled: 1-line block ×3, first 2 shown]
	v_mul_f64 v[79:80], v[67:68], s[4:5]
	v_mul_f64 v[77:78], v[43:44], s[14:15]
	v_fma_f64 v[39:40], v[105:106], s[8:9], v[87:88]
	v_fma_f64 v[7:8], v[105:106], s[6:7], v[7:8]
	v_mul_f64 v[45:46], v[69:70], s[6:7]
	v_mul_f64 v[58:59], v[89:90], s[8:9]
	v_add_f64 v[11:12], v[11:12], v[27:28]
	v_mul_f64 v[75:76], v[81:82], s[0:1]
	v_mul_f64 v[85:86], v[35:36], s[14:15]
	;; [unrolled: 1-line block ×4, first 2 shown]
	v_fma_f64 v[27:28], v[83:84], s[14:15], v[13:14]
	v_fma_f64 v[21:22], v[41:42], s[14:15], v[21:22]
	;; [unrolled: 1-line block ×5, first 2 shown]
	v_fma_f64 v[73:74], v[35:36], s[0:1], -v[77:78]
	v_fma_f64 v[33:34], v[15:16], s[14:15], v[39:40]
	v_cmp_gt_u32_e64 s0, 30, v50
	v_fma_f64 v[39:40], v[89:90], s[16:17], v[45:46]
	v_fma_f64 v[45:46], v[69:70], s[16:17], v[58:59]
	v_fma_f64 v[58:59], v[19:20], s[14:15], v[5:6]
	v_fma_f64 v[67:68], v[67:68], s[14:15], v[75:76]
	v_fma_f64 v[69:70], v[15:16], s[14:15], v[7:8]
	v_fma_f64 v[43:44], v[43:44], s[4:5], -v[85:86]
	v_fma_f64 v[75:76], v[83:84], s[14:15], v[31:32]
	v_fma_f64 v[77:78], v[23:24], s[6:7], -v[87:88]
	v_fma_f64 v[79:80], v[37:38], s[8:9], -v[91:92]
	v_add_f64 v[5:6], v[11:12], v[1:2]
	v_add_f64 v[7:8], v[25:26], v[17:18]
	v_add_f64 v[9:10], v[11:12], -v[1:2]
	v_add_f64 v[11:12], v[25:26], -v[17:18]
	v_add_f64 v[23:24], v[33:34], v[71:72]
	v_add_f64 v[13:14], v[27:28], v[39:40]
	;; [unrolled: 1-line block ×3, first 2 shown]
	v_add_f64 v[19:20], v[21:22], -v[45:46]
	v_add_f64 v[21:22], v[29:30], v[67:68]
	v_add_f64 v[25:26], v[29:30], -v[67:68]
	v_add_f64 v[29:30], v[58:59], v[73:74]
	v_add_f64 v[31:32], v[69:70], v[43:44]
	v_add_f64 v[17:18], v[27:28], -v[39:40]
	v_add_f64 v[27:28], v[33:34], -v[71:72]
	v_add_f64 v[33:34], v[75:76], v[77:78]
	v_add_f64 v[35:36], v[41:42], v[79:80]
	v_add_f64 v[37:38], v[58:59], -v[73:74]
	v_add_f64 v[39:40], v[69:70], -v[43:44]
	;; [unrolled: 1-line block ×4, first 2 shown]
	v_mad_u32_u24 v41, 0x640, v47, 0
                                        ; implicit-def: $vgpr46_vgpr47
	v_add3_u32 v4, v41, v4, v60
	ds_write_b128 v4, v[5:8]
	ds_write_b128 v4, v[9:12] offset:800
	ds_write_b128 v4, v[13:16] offset:160
	;; [unrolled: 1-line block ×9, first 2 shown]
	s_waitcnt lgkmcnt(0)
	s_barrier
	buffer_gl0_inv
	ds_read_b128 v[8:11], v63
	ds_read_b128 v[40:43], v55 offset:4800
	ds_read_b128 v[32:35], v55 offset:9600
	ds_read_b128 v[16:19], v55 offset:11040
	ds_read_b128 v[4:7], v65
	ds_read_b128 v[28:31], v55 offset:6240
	ds_read_b128 v[20:23], v55 offset:7680
	ds_read_b128 v[12:15], v66
	ds_read_b128 v[24:27], v55 offset:12480
                                        ; implicit-def: $vgpr38_vgpr39
	s_and_saveexec_b32 s1, s0
	s_cbranch_execz .LBB0_15
; %bb.14:
	ds_read_b128 v[0:3], v64
	ds_read_b128 v[36:39], v55 offset:9120
	ds_read_b128 v[44:47], v55 offset:13920
.LBB0_15:
	s_or_b32 exec_lo, exec_lo, s1
	v_lshlrev_b32_e32 v72, 1, v50
	v_mov_b32_e32 v73, 0
	v_add_nc_u32_e32 v67, -10, v50
	v_mov_b32_e32 v76, 0x147b
	v_lshrrev_b16 v77, 2, v56
	v_mov_b32_e32 v88, 5
	v_lshlrev_b64 v[58:59], 4, v[72:73]
	s_mov_b32 s4, 0xe8584caa
	s_mov_b32 s5, 0x3febb67a
	;; [unrolled: 1-line block ×4, first 2 shown]
	v_add_co_u32 v58, s1, s12, v58
	v_add_co_ci_u32_e64 v59, s1, s13, v59, s1
	v_cmp_gt_u32_e64 s1, 10, v50
	global_load_dwordx4 v[68:71], v[58:59], off offset:1440
	v_cndmask_b32_e64 v106, v67, v54, s1
	v_lshrrev_b16 v67, 2, v57
	v_lshlrev_b32_e32 v72, 1, v106
	v_mul_u32_u24_sdwa v67, v67, v76 dst_sel:DWORD dst_unused:UNUSED_PAD src0_sel:WORD_0 src1_sel:DWORD
	v_lshlrev_b64 v[72:73], 4, v[72:73]
	v_lshrrev_b32_e32 v107, 17, v67
	v_mul_u32_u24_sdwa v67, v77, v76 dst_sel:DWORD dst_unused:UNUSED_PAD src0_sel:WORD_0 src1_sel:DWORD
	v_mul_lo_u16 v82, 0x64, v107
	v_add_co_u32 v80, s1, s12, v72
	v_add_co_ci_u32_e64 v81, s1, s13, v73, s1
	global_load_dwordx4 v[72:75], v[58:59], off offset:1456
	v_lshrrev_b32_e32 v67, 17, v67
	v_sub_nc_u16 v108, v57, v82
	global_load_dwordx4 v[76:79], v[80:81], off offset:1440
	v_cmp_lt_u32_e64 s1, 9, v50
	v_mul_lo_u16 v67, 0x64, v67
	v_lshlrev_b32_sdwa v89, v88, v108 dst_sel:DWORD dst_unused:UNUSED_PAD src0_sel:DWORD src1_sel:WORD_0
	s_clause 0x1
	global_load_dwordx4 v[80:83], v[80:81], off offset:1456
	global_load_dwordx4 v[84:87], v89, s[12:13] offset:1440
	v_sub_nc_u16 v67, v56, v67
	v_lshlrev_b32_sdwa v61, v61, v108 dst_sel:DWORD dst_unused:UNUSED_PAD src0_sel:DWORD src1_sel:WORD_0
	v_lshlrev_b32_sdwa v96, v88, v67 dst_sel:DWORD dst_unused:UNUSED_PAD src0_sel:DWORD src1_sel:WORD_0
	s_clause 0x2
	global_load_dwordx4 v[88:91], v89, s[12:13] offset:1456
	global_load_dwordx4 v[92:95], v96, s[12:13] offset:1440
	;; [unrolled: 1-line block ×3, first 2 shown]
	s_waitcnt vmcnt(0) lgkmcnt(0)
	s_barrier
	buffer_gl0_inv
	v_mul_f64 v[100:101], v[42:43], v[70:71]
	v_mul_f64 v[70:71], v[40:41], v[70:71]
	v_fma_f64 v[40:41], v[40:41], v[68:69], -v[100:101]
	v_mul_f64 v[102:103], v[34:35], v[74:75]
	v_mul_f64 v[74:75], v[32:33], v[74:75]
	v_fma_f64 v[42:43], v[42:43], v[68:69], v[70:71]
	v_mul_f64 v[104:105], v[30:31], v[78:79]
	v_mul_f64 v[68:69], v[28:29], v[78:79]
	;; [unrolled: 1-line block ×5, first 2 shown]
	v_fma_f64 v[32:33], v[32:33], v[72:73], -v[102:103]
	v_fma_f64 v[34:35], v[34:35], v[72:73], v[74:75]
	v_mul_f64 v[72:73], v[20:21], v[86:87]
	v_mul_f64 v[74:75], v[26:27], v[90:91]
	;; [unrolled: 1-line block ×4, first 2 shown]
	v_fma_f64 v[28:29], v[28:29], v[76:77], -v[104:105]
	v_fma_f64 v[30:31], v[30:31], v[76:77], v[68:69]
	v_mul_f64 v[68:69], v[46:47], v[98:99]
	v_mul_f64 v[76:77], v[36:37], v[94:95]
	;; [unrolled: 1-line block ×3, first 2 shown]
	v_fma_f64 v[16:17], v[16:17], v[80:81], -v[70:71]
	v_fma_f64 v[20:21], v[20:21], v[84:85], -v[82:83]
	v_fma_f64 v[18:19], v[18:19], v[80:81], v[78:79]
	v_add_f64 v[78:79], v[8:9], v[40:41]
	v_add_f64 v[82:83], v[10:11], v[42:43]
	v_cndmask_b32_e64 v104, 0, 0x12c0, s1
	v_add_f64 v[70:71], v[42:43], v[34:35]
	v_fma_f64 v[22:23], v[22:23], v[84:85], v[72:73]
	v_fma_f64 v[24:25], v[24:25], v[88:89], -v[74:75]
	v_fma_f64 v[26:27], v[26:27], v[88:89], v[86:87]
	v_fma_f64 v[36:37], v[36:37], v[92:93], -v[90:91]
	v_add_f64 v[42:43], v[42:43], -v[34:35]
	v_add_f64 v[88:89], v[12:13], v[28:29]
	v_fma_f64 v[44:45], v[44:45], v[96:97], -v[68:69]
	v_fma_f64 v[38:39], v[38:39], v[92:93], v[76:77]
	v_fma_f64 v[46:47], v[46:47], v[96:97], v[94:95]
	v_add_f64 v[68:69], v[40:41], v[32:33]
	v_add_f64 v[72:73], v[28:29], v[16:17]
	;; [unrolled: 1-line block ×3, first 2 shown]
	v_add_f64 v[40:41], v[40:41], -v[32:33]
	v_add_f64 v[92:93], v[4:5], v[20:21]
	v_add_f64 v[90:91], v[14:15], v[30:31]
	v_fma_f64 v[10:11], v[70:71], -0.5, v[10:11]
	v_add_f64 v[94:95], v[6:7], v[22:23]
	v_add_f64 v[76:77], v[20:21], v[24:25]
	;; [unrolled: 1-line block ×4, first 2 shown]
	v_add_f64 v[100:101], v[22:23], -v[26:27]
	v_add_f64 v[102:103], v[20:21], -v[24:25]
	v_add_f64 v[84:85], v[36:37], v[44:45]
	v_add_f64 v[98:99], v[2:3], v[38:39]
	;; [unrolled: 1-line block ×3, first 2 shown]
	v_fma_f64 v[8:9], v[68:69], -0.5, v[8:9]
	v_fma_f64 v[72:73], v[72:73], -0.5, v[12:13]
	v_add_f64 v[12:13], v[78:79], v[32:33]
	v_add_f64 v[68:69], v[30:31], -v[18:19]
	v_add_f64 v[70:71], v[28:29], -v[16:17]
	v_fma_f64 v[74:75], v[74:75], -0.5, v[14:15]
	v_add_f64 v[14:15], v[82:83], v[34:35]
	v_add_f64 v[20:21], v[92:93], v[24:25]
	;; [unrolled: 1-line block ×4, first 2 shown]
	v_fma_f64 v[30:31], v[40:41], s[4:5], v[10:11]
	v_add_f64 v[22:23], v[94:95], v[26:27]
	v_fma_f64 v[4:5], v[76:77], -0.5, v[4:5]
	v_add_f64 v[76:77], v[38:39], -v[46:47]
	v_fma_f64 v[6:7], v[80:81], -0.5, v[6:7]
	v_add_f64 v[80:81], v[36:37], -v[44:45]
	v_fma_f64 v[26:27], v[40:41], s[6:7], v[10:11]
	v_fma_f64 v[84:85], v[84:85], -0.5, v[0:1]
	v_add_f64 v[0:1], v[96:97], v[44:45]
	v_fma_f64 v[78:79], v[86:87], -0.5, v[2:3]
	v_add_f64 v[2:3], v[98:99], v[46:47]
	v_fma_f64 v[24:25], v[42:43], s[4:5], v[8:9]
	v_fma_f64 v[28:29], v[42:43], s[6:7], v[8:9]
	;; [unrolled: 1-line block ×6, first 2 shown]
	v_add_nc_u32_e32 v68, 0, v104
	v_lshlrev_b32_e32 v69, 4, v106
	v_mad_u32_u24 v70, 0x12c0, v107, 0
	v_add3_u32 v68, v68, v69, v60
	v_fma_f64 v[40:41], v[100:101], s[4:5], v[4:5]
	v_fma_f64 v[44:45], v[100:101], s[6:7], v[4:5]
	v_fma_f64 v[42:43], v[102:103], s[6:7], v[6:7]
	v_fma_f64 v[46:47], v[102:103], s[4:5], v[6:7]
	v_add3_u32 v61, v70, v61, v60
	v_fma_f64 v[4:5], v[76:77], s[4:5], v[84:85]
	v_fma_f64 v[8:9], v[76:77], s[6:7], v[84:85]
	v_fma_f64 v[6:7], v[80:81], s[6:7], v[78:79]
	v_fma_f64 v[10:11], v[80:81], s[4:5], v[78:79]
	ds_write_b128 v55, v[12:15]
	ds_write_b128 v55, v[24:27] offset:1600
	ds_write_b128 v55, v[28:31] offset:3200
	ds_write_b128 v68, v[16:19]
	ds_write_b128 v68, v[32:35] offset:1600
	ds_write_b128 v68, v[36:39] offset:3200
	;; [unrolled: 3-line block ×3, first 2 shown]
	s_and_saveexec_b32 s1, s0
	s_cbranch_execz .LBB0_17
; %bb.16:
	v_mov_b32_e32 v12, 4
	v_lshlrev_b32_sdwa v12, v12, v67 dst_sel:DWORD dst_unused:UNUSED_PAD src0_sel:DWORD src1_sel:WORD_0
	v_add3_u32 v12, 0, v12, v60
	ds_write_b128 v12, v[0:3] offset:9600
	ds_write_b128 v12, v[4:7] offset:11200
	;; [unrolled: 1-line block ×3, first 2 shown]
.LBB0_17:
	s_or_b32 exec_lo, exec_lo, s1
	s_waitcnt lgkmcnt(0)
	s_barrier
	buffer_gl0_inv
	ds_read_b128 v[16:19], v63
	ds_read_b128 v[32:35], v55 offset:4800
	ds_read_b128 v[36:39], v55 offset:9600
	;; [unrolled: 1-line block ×3, first 2 shown]
	ds_read_b128 v[12:15], v65
	ds_read_b128 v[44:47], v55 offset:6240
	ds_read_b128 v[28:31], v55 offset:7680
	ds_read_b128 v[20:23], v66
	ds_read_b128 v[40:43], v55 offset:12480
	s_and_saveexec_b32 s1, s0
	s_cbranch_execz .LBB0_19
; %bb.18:
	ds_read_b128 v[0:3], v64
	ds_read_b128 v[4:7], v55 offset:9120
	ds_read_b128 v[8:11], v55 offset:13920
.LBB0_19:
	s_or_b32 exec_lo, exec_lo, s1
	v_lshlrev_b32_e32 v60, 1, v54
	v_mov_b32_e32 v61, 0
	v_add_co_u32 v67, s1, 0x1000, v58
	v_add_co_ci_u32_e64 v68, s1, 0, v59, s1
	v_lshlrev_b64 v[75:76], 4, v[60:61]
	v_add_co_u32 v58, s1, 0x1220, v58
	v_lshlrev_b32_e32 v60, 1, v57
	v_add_co_ci_u32_e64 v59, s1, 0, v59, s1
	v_add_co_u32 v75, s1, s12, v75
	s_clause 0x1
	global_load_dwordx4 v[67:70], v[67:68], off offset:544
	global_load_dwordx4 v[71:74], v[58:59], off offset:16
	v_add_co_ci_u32_e64 v76, s1, s13, v76, s1
	v_lshlrev_b64 v[58:59], 4, v[60:61]
	v_add_co_u32 v79, s1, 0x1220, v75
	v_add_co_ci_u32_e64 v80, s1, 0, v76, s1
	s_mov_b32 s6, s4
	v_add_co_u32 v60, s1, s12, v58
	v_add_co_ci_u32_e64 v77, s1, s13, v59, s1
	v_add_co_u32 v58, s1, 0x1000, v75
	v_add_co_ci_u32_e64 v59, s1, 0, v76, s1
	v_add_co_u32 v83, s1, 0x1000, v60
	v_add_co_ci_u32_e64 v84, s1, 0, v77, s1
	v_add_co_u32 v87, s1, 0x1220, v60
	v_add_co_ci_u32_e64 v88, s1, 0, v77, s1
	s_clause 0x3
	global_load_dwordx4 v[75:78], v[58:59], off offset:544
	global_load_dwordx4 v[79:82], v[79:80], off offset:16
	;; [unrolled: 1-line block ×4, first 2 shown]
	s_waitcnt vmcnt(0) lgkmcnt(0)
	s_barrier
	buffer_gl0_inv
	v_mul_f64 v[58:59], v[34:35], v[69:70]
	v_mul_f64 v[91:92], v[38:39], v[73:74]
	v_mul_f64 v[69:70], v[32:33], v[69:70]
	v_mul_f64 v[73:74], v[36:37], v[73:74]
	v_fma_f64 v[32:33], v[32:33], v[67:68], -v[58:59]
	v_mul_f64 v[93:94], v[46:47], v[77:78]
	v_mul_f64 v[95:96], v[26:27], v[81:82]
	;; [unrolled: 1-line block ×8, first 2 shown]
	v_fma_f64 v[36:37], v[36:37], v[71:72], -v[91:92]
	v_fma_f64 v[34:35], v[34:35], v[67:68], v[69:70]
	v_fma_f64 v[38:39], v[38:39], v[71:72], v[73:74]
	v_fma_f64 v[44:45], v[44:45], v[75:76], -v[93:94]
	v_fma_f64 v[24:25], v[24:25], v[79:80], -v[95:96]
	v_fma_f64 v[46:47], v[46:47], v[75:76], v[77:78]
	v_fma_f64 v[26:27], v[26:27], v[79:80], v[81:82]
	v_fma_f64 v[28:29], v[28:29], v[83:84], -v[97:98]
	v_fma_f64 v[40:41], v[40:41], v[87:88], -v[99:100]
	v_fma_f64 v[30:31], v[30:31], v[83:84], v[85:86]
	v_fma_f64 v[42:43], v[42:43], v[87:88], v[89:90]
	v_add_f64 v[58:59], v[32:33], v[36:37]
	v_add_f64 v[77:78], v[16:17], v[32:33]
	;; [unrolled: 1-line block ×3, first 2 shown]
	v_add_f64 v[79:80], v[34:35], -v[38:39]
	v_add_f64 v[34:35], v[18:19], v[34:35]
	v_add_f64 v[32:33], v[32:33], -v[36:37]
	v_add_f64 v[81:82], v[20:21], v[44:45]
	v_add_f64 v[69:70], v[44:45], v[24:25]
	;; [unrolled: 1-line block ×4, first 2 shown]
	v_add_f64 v[46:47], v[46:47], -v[26:27]
	v_add_f64 v[73:74], v[28:29], v[40:41]
	v_add_f64 v[44:45], v[44:45], -v[24:25]
	v_add_f64 v[75:76], v[30:31], v[42:43]
	v_fma_f64 v[58:59], v[58:59], -0.5, v[16:17]
	v_add_f64 v[85:86], v[12:13], v[28:29]
	v_fma_f64 v[67:68], v[67:68], -0.5, v[18:19]
	v_add_f64 v[87:88], v[14:15], v[30:31]
	v_add_f64 v[89:90], v[30:31], -v[42:43]
	v_add_f64 v[91:92], v[28:29], -v[40:41]
	v_add_f64 v[16:17], v[81:82], v[24:25]
	v_fma_f64 v[69:70], v[69:70], -0.5, v[20:21]
	v_add_f64 v[18:19], v[83:84], v[26:27]
	v_fma_f64 v[71:72], v[71:72], -0.5, v[22:23]
	v_fma_f64 v[73:74], v[73:74], -0.5, v[12:13]
	v_add_f64 v[12:13], v[77:78], v[36:37]
	v_fma_f64 v[75:76], v[75:76], -0.5, v[14:15]
	v_add_f64 v[14:15], v[34:35], v[38:39]
	v_fma_f64 v[24:25], v[79:80], s[4:5], v[58:59]
	v_fma_f64 v[26:27], v[32:33], s[6:7], v[67:68]
	;; [unrolled: 1-line block ×4, first 2 shown]
	v_add_f64 v[20:21], v[85:86], v[40:41]
	v_add_f64 v[22:23], v[87:88], v[42:43]
	v_fma_f64 v[32:33], v[46:47], s[4:5], v[69:70]
	v_fma_f64 v[36:37], v[46:47], s[6:7], v[69:70]
	;; [unrolled: 1-line block ×8, first 2 shown]
	ds_write_b128 v55, v[12:15]
	ds_write_b128 v55, v[24:27] offset:4800
	ds_write_b128 v55, v[28:31] offset:9600
	ds_write_b128 v66, v[16:19]
	ds_write_b128 v66, v[32:35] offset:4800
	ds_write_b128 v66, v[36:39] offset:9600
	;; [unrolled: 3-line block ×3, first 2 shown]
	s_and_saveexec_b32 s1, s0
	s_cbranch_execz .LBB0_21
; %bb.20:
	v_subrev_nc_u32_e32 v12, 30, v50
	v_cndmask_b32_e64 v12, v12, v56, s0
	v_lshlrev_b32_e32 v60, 1, v12
	v_lshlrev_b64 v[12:13], 4, v[60:61]
	v_add_co_u32 v14, s0, s12, v12
	v_add_co_ci_u32_e64 v15, s0, s13, v13, s0
	v_add_co_u32 v12, s0, 0x1000, v14
	v_add_co_ci_u32_e64 v13, s0, 0, v15, s0
	;; [unrolled: 2-line block ×3, first 2 shown]
	s_clause 0x1
	global_load_dwordx4 v[12:15], v[12:13], off offset:544
	global_load_dwordx4 v[16:19], v[16:17], off offset:16
	s_waitcnt vmcnt(1)
	v_mul_f64 v[20:21], v[4:5], v[14:15]
	s_waitcnt vmcnt(0)
	v_mul_f64 v[22:23], v[8:9], v[18:19]
	v_mul_f64 v[14:15], v[6:7], v[14:15]
	;; [unrolled: 1-line block ×3, first 2 shown]
	v_fma_f64 v[6:7], v[6:7], v[12:13], v[20:21]
	v_fma_f64 v[10:11], v[10:11], v[16:17], v[22:23]
	v_fma_f64 v[4:5], v[4:5], v[12:13], -v[14:15]
	v_fma_f64 v[8:9], v[8:9], v[16:17], -v[18:19]
	v_add_f64 v[18:19], v[2:3], v[6:7]
	v_add_f64 v[12:13], v[6:7], v[10:11]
	v_add_f64 v[20:21], v[6:7], -v[10:11]
	v_add_f64 v[14:15], v[4:5], v[8:9]
	v_add_f64 v[16:17], v[4:5], -v[8:9]
	v_add_f64 v[4:5], v[0:1], v[4:5]
	v_fma_f64 v[12:13], v[12:13], -0.5, v[2:3]
	v_add_f64 v[2:3], v[18:19], v[10:11]
	v_fma_f64 v[14:15], v[14:15], -0.5, v[0:1]
	v_add_f64 v[0:1], v[4:5], v[8:9]
	v_fma_f64 v[10:11], v[16:17], s[6:7], v[12:13]
	v_fma_f64 v[6:7], v[16:17], s[4:5], v[12:13]
	;; [unrolled: 1-line block ×4, first 2 shown]
	ds_write_b128 v55, v[0:3] offset:4320
	ds_write_b128 v55, v[8:11] offset:9120
	;; [unrolled: 1-line block ×3, first 2 shown]
.LBB0_21:
	s_or_b32 exec_lo, exec_lo, s1
	s_waitcnt lgkmcnt(0)
	s_barrier
	buffer_gl0_inv
	ds_read_b128 v[4:7], v63
	v_sub_nc_u32_e32 v12, v62, v51
	s_add_u32 s1, s12, 0x37a0
	s_addc_u32 s4, s13, 0
	s_mov_b32 s5, exec_lo
                                        ; implicit-def: $vgpr0_vgpr1
                                        ; implicit-def: $vgpr8_vgpr9
                                        ; implicit-def: $vgpr10_vgpr11
	v_cmpx_ne_u32_e32 0, v50
	s_xor_b32 s5, exec_lo, s5
	s_cbranch_execz .LBB0_23
; %bb.22:
	v_mov_b32_e32 v51, 0
	v_lshlrev_b64 v[0:1], 4, v[50:51]
	v_add_co_u32 v0, s0, s1, v0
	v_add_co_ci_u32_e64 v1, s0, s4, v1, s0
	global_load_dwordx4 v[13:16], v[0:1], off
	ds_read_b128 v[0:3], v12 offset:14400
	s_waitcnt lgkmcnt(0)
	v_add_f64 v[8:9], v[4:5], -v[0:1]
	v_add_f64 v[10:11], v[6:7], v[2:3]
	v_add_f64 v[2:3], v[6:7], -v[2:3]
	v_add_f64 v[0:1], v[4:5], v[0:1]
	v_mul_f64 v[6:7], v[8:9], 0.5
	v_mul_f64 v[4:5], v[10:11], 0.5
	;; [unrolled: 1-line block ×3, first 2 shown]
	s_waitcnt vmcnt(0)
	v_mul_f64 v[8:9], v[6:7], v[15:16]
	v_fma_f64 v[10:11], v[4:5], v[15:16], v[2:3]
	v_fma_f64 v[2:3], v[4:5], v[15:16], -v[2:3]
	v_fma_f64 v[17:18], v[0:1], 0.5, v[8:9]
	v_fma_f64 v[0:1], v[0:1], 0.5, -v[8:9]
	v_fma_f64 v[10:11], -v[13:14], v[6:7], v[10:11]
	v_fma_f64 v[2:3], -v[13:14], v[6:7], v[2:3]
	v_fma_f64 v[8:9], v[4:5], v[13:14], v[17:18]
	v_fma_f64 v[0:1], -v[4:5], v[13:14], v[0:1]
                                        ; implicit-def: $vgpr4_vgpr5
.LBB0_23:
	s_andn2_saveexec_b32 s0, s5
	s_cbranch_execz .LBB0_25
; %bb.24:
	ds_read_b64 v[13:14], v62 offset:7208
	s_waitcnt lgkmcnt(1)
	v_add_f64 v[8:9], v[4:5], v[6:7]
	v_add_f64 v[0:1], v[4:5], -v[6:7]
	v_mov_b32_e32 v10, 0
	v_mov_b32_e32 v11, 0
	;; [unrolled: 1-line block ×4, first 2 shown]
	s_waitcnt lgkmcnt(0)
	v_xor_b32_e32 v14, 0x80000000, v14
	ds_write_b64 v62, v[13:14] offset:7208
.LBB0_25:
	s_or_b32 exec_lo, exec_lo, s0
	v_mov_b32_e32 v55, 0
	ds_write2_b64 v63, v[8:9], v[10:11] offset1:1
	ds_write_b128 v12, v[0:3] offset:14400
	s_waitcnt lgkmcnt(2)
	v_lshlrev_b64 v[4:5], 4, v[54:55]
	v_mov_b32_e32 v58, v55
	v_add_nc_u32_e32 v54, 0x168, v50
	v_lshlrev_b64 v[13:14], 4, v[57:58]
	v_add_co_u32 v4, s0, s1, v4
	v_add_co_ci_u32_e64 v5, s0, s4, v5, s0
	v_mov_b32_e32 v57, v55
	v_add_co_u32 v13, s0, s1, v13
	global_load_dwordx4 v[4:7], v[4:5], off
	v_add_co_ci_u32_e64 v14, s0, s4, v14, s0
	v_lshlrev_b64 v[17:18], 4, v[56:57]
	global_load_dwordx4 v[13:16], v[13:14], off
	ds_read_b128 v[0:3], v66
	ds_read_b128 v[8:11], v12 offset:12960
	v_add_co_u32 v17, s0, s1, v17
	v_add_co_ci_u32_e64 v18, s0, s4, v18, s0
	global_load_dwordx4 v[17:20], v[17:18], off
	s_waitcnt lgkmcnt(0)
	v_add_f64 v[21:22], v[0:1], -v[8:9]
	v_add_f64 v[23:24], v[2:3], v[10:11]
	v_add_f64 v[2:3], v[2:3], -v[10:11]
	v_add_f64 v[0:1], v[0:1], v[8:9]
	v_mul_f64 v[10:11], v[21:22], 0.5
	v_mul_f64 v[21:22], v[23:24], 0.5
	;; [unrolled: 1-line block ×3, first 2 shown]
	s_waitcnt vmcnt(2)
	v_mul_f64 v[8:9], v[10:11], v[6:7]
	v_fma_f64 v[23:24], v[21:22], v[6:7], v[2:3]
	v_fma_f64 v[2:3], v[21:22], v[6:7], -v[2:3]
	v_fma_f64 v[6:7], v[0:1], 0.5, v[8:9]
	v_fma_f64 v[0:1], v[0:1], 0.5, -v[8:9]
	v_fma_f64 v[8:9], -v[4:5], v[10:11], v[23:24]
	v_fma_f64 v[2:3], -v[4:5], v[10:11], v[2:3]
	v_lshlrev_b64 v[10:11], 4, v[54:55]
	v_fma_f64 v[6:7], v[21:22], v[4:5], v[6:7]
	v_fma_f64 v[0:1], -v[21:22], v[4:5], v[0:1]
	ds_write2_b64 v66, v[6:7], v[8:9] offset1:1
	ds_write_b128 v12, v[0:3] offset:12960
	v_add_co_u32 v8, s0, s1, v10
	ds_read_b128 v[0:3], v65
	ds_read_b128 v[4:7], v12 offset:11520
	v_add_co_ci_u32_e64 v9, s0, s4, v11, s0
	global_load_dwordx4 v[8:11], v[8:9], off
	s_waitcnt lgkmcnt(0)
	v_add_f64 v[21:22], v[0:1], -v[4:5]
	v_add_f64 v[23:24], v[2:3], v[6:7]
	v_add_f64 v[2:3], v[2:3], -v[6:7]
	v_add_f64 v[0:1], v[0:1], v[4:5]
	v_mul_f64 v[6:7], v[21:22], 0.5
	v_mul_f64 v[21:22], v[23:24], 0.5
	;; [unrolled: 1-line block ×3, first 2 shown]
	s_waitcnt vmcnt(2)
	v_mul_f64 v[4:5], v[6:7], v[15:16]
	v_fma_f64 v[23:24], v[21:22], v[15:16], v[2:3]
	v_fma_f64 v[2:3], v[21:22], v[15:16], -v[2:3]
	v_fma_f64 v[15:16], v[0:1], 0.5, v[4:5]
	v_fma_f64 v[0:1], v[0:1], 0.5, -v[4:5]
	v_fma_f64 v[4:5], -v[13:14], v[6:7], v[23:24]
	v_fma_f64 v[2:3], -v[13:14], v[6:7], v[2:3]
	v_fma_f64 v[6:7], v[21:22], v[13:14], v[15:16]
	v_fma_f64 v[0:1], -v[21:22], v[13:14], v[0:1]
	ds_write2_b64 v65, v[6:7], v[4:5] offset1:1
	ds_write_b128 v12, v[0:3] offset:11520
	ds_read_b128 v[0:3], v64
	ds_read_b128 v[4:7], v12 offset:10080
	s_waitcnt lgkmcnt(0)
	v_add_f64 v[13:14], v[0:1], -v[4:5]
	v_add_f64 v[15:16], v[2:3], v[6:7]
	v_add_f64 v[2:3], v[2:3], -v[6:7]
	v_add_f64 v[0:1], v[0:1], v[4:5]
	v_mul_f64 v[6:7], v[13:14], 0.5
	v_mul_f64 v[13:14], v[15:16], 0.5
	;; [unrolled: 1-line block ×3, first 2 shown]
	s_waitcnt vmcnt(1)
	v_mul_f64 v[4:5], v[6:7], v[19:20]
	v_fma_f64 v[15:16], v[13:14], v[19:20], v[2:3]
	v_fma_f64 v[2:3], v[13:14], v[19:20], -v[2:3]
	v_fma_f64 v[19:20], v[0:1], 0.5, v[4:5]
	v_fma_f64 v[0:1], v[0:1], 0.5, -v[4:5]
	v_fma_f64 v[4:5], -v[17:18], v[6:7], v[15:16]
	v_fma_f64 v[2:3], -v[17:18], v[6:7], v[2:3]
	v_fma_f64 v[6:7], v[13:14], v[17:18], v[19:20]
	v_fma_f64 v[0:1], -v[13:14], v[17:18], v[0:1]
	ds_write2_b64 v64, v[6:7], v[4:5] offset1:1
	ds_write_b128 v12, v[0:3] offset:10080
	ds_read_b128 v[0:3], v63 offset:5760
	ds_read_b128 v[4:7], v12 offset:8640
	s_waitcnt lgkmcnt(0)
	v_add_f64 v[13:14], v[0:1], -v[4:5]
	v_add_f64 v[15:16], v[2:3], v[6:7]
	v_add_f64 v[2:3], v[2:3], -v[6:7]
	v_add_f64 v[0:1], v[0:1], v[4:5]
	v_mul_f64 v[6:7], v[13:14], 0.5
	v_mul_f64 v[13:14], v[15:16], 0.5
	;; [unrolled: 1-line block ×3, first 2 shown]
	s_waitcnt vmcnt(0)
	v_mul_f64 v[4:5], v[6:7], v[10:11]
	v_fma_f64 v[15:16], v[13:14], v[10:11], v[2:3]
	v_fma_f64 v[2:3], v[13:14], v[10:11], -v[2:3]
	v_fma_f64 v[10:11], v[0:1], 0.5, v[4:5]
	v_fma_f64 v[0:1], v[0:1], 0.5, -v[4:5]
	v_fma_f64 v[4:5], -v[8:9], v[6:7], v[15:16]
	v_fma_f64 v[2:3], -v[8:9], v[6:7], v[2:3]
	v_fma_f64 v[6:7], v[13:14], v[8:9], v[10:11]
	v_fma_f64 v[0:1], -v[13:14], v[8:9], v[0:1]
	v_add_nc_u32_e32 v8, 0x1000, v63
	ds_write2_b64 v8, v[6:7], v[4:5] offset0:208 offset1:209
	ds_write_b128 v12, v[0:3] offset:8640
	s_waitcnt lgkmcnt(0)
	s_barrier
	buffer_gl0_inv
	s_and_saveexec_b32 s0, vcc_lo
	s_cbranch_execz .LBB0_28
; %bb.26:
	v_mul_lo_u32 v0, s3, v52
	v_mul_lo_u32 v3, s2, v53
	v_mad_u64_u32 v[1:2], null, s2, v52, 0
	v_mov_b32_e32 v51, v55
	v_lshlrev_b64 v[11:12], 4, v[48:49]
	v_add_nc_u32_e32 v54, 0x5a, v50
	v_lshlrev_b64 v[13:14], 4, v[50:51]
	v_add3_u32 v2, v2, v3, v0
	v_lshl_add_u32 v0, v50, 4, v62
	v_lshlrev_b64 v[15:16], 4, v[54:55]
	ds_read_b128 v[3:6], v0
	ds_read_b128 v[7:10], v0 offset:1440
	v_lshlrev_b64 v[1:2], 4, v[1:2]
	v_add_nc_u32_e32 v54, 0xb4, v50
	v_add_co_u32 v1, vcc_lo, s10, v1
	v_add_co_ci_u32_e32 v2, vcc_lo, s11, v2, vcc_lo
	v_add_co_u32 v1, vcc_lo, v1, v11
	v_add_co_ci_u32_e32 v2, vcc_lo, v2, v12, vcc_lo
	;; [unrolled: 2-line block ×4, first 2 shown]
	v_lshlrev_b64 v[15:16], 4, v[54:55]
	v_add_nc_u32_e32 v54, 0x10e, v50
	s_waitcnt lgkmcnt(1)
	global_store_dwordx4 v[11:12], v[3:6], off
	s_waitcnt lgkmcnt(0)
	global_store_dwordx4 v[13:14], v[7:10], off
	ds_read_b128 v[3:6], v0 offset:2880
	ds_read_b128 v[7:10], v0 offset:4320
	v_lshlrev_b64 v[19:20], 4, v[54:55]
	v_add_nc_u32_e32 v54, 0x168, v50
	v_add_co_u32 v21, vcc_lo, v1, v15
	v_add_co_ci_u32_e32 v22, vcc_lo, v2, v16, vcc_lo
	ds_read_b128 v[11:14], v0 offset:5760
	ds_read_b128 v[15:18], v0 offset:7200
	v_lshlrev_b64 v[23:24], 4, v[54:55]
	v_add_nc_u32_e32 v54, 0x1c2, v50
	v_add_co_u32 v19, vcc_lo, v1, v19
	v_add_co_ci_u32_e32 v20, vcc_lo, v2, v20, vcc_lo
	v_lshlrev_b64 v[25:26], 4, v[54:55]
	v_add_nc_u32_e32 v54, 0x21c, v50
	v_add_co_u32 v23, vcc_lo, v1, v23
	s_waitcnt lgkmcnt(3)
	global_store_dwordx4 v[21:22], v[3:6], off
	v_add_co_ci_u32_e32 v24, vcc_lo, v2, v24, vcc_lo
	v_lshlrev_b64 v[3:4], 4, v[54:55]
	v_add_nc_u32_e32 v54, 0x276, v50
	v_add_co_u32 v25, vcc_lo, v1, v25
	v_add_co_ci_u32_e32 v26, vcc_lo, v2, v26, vcc_lo
	v_lshlrev_b64 v[21:22], 4, v[54:55]
	v_add_nc_u32_e32 v54, 0x2d0, v50
	s_waitcnt lgkmcnt(2)
	global_store_dwordx4 v[19:20], v[7:10], off
	s_waitcnt lgkmcnt(1)
	global_store_dwordx4 v[23:24], v[11:14], off
	;; [unrolled: 2-line block ×3, first 2 shown]
	v_add_co_u32 v19, vcc_lo, v1, v3
	v_add_co_ci_u32_e32 v20, vcc_lo, v2, v4, vcc_lo
	ds_read_b128 v[3:6], v0 offset:8640
	ds_read_b128 v[7:10], v0 offset:10080
	;; [unrolled: 1-line block ×4, first 2 shown]
	v_lshlrev_b64 v[23:24], 4, v[54:55]
	v_add_nc_u32_e32 v54, 0x32a, v50
	v_add_co_u32 v21, vcc_lo, v1, v21
	v_add_co_ci_u32_e32 v22, vcc_lo, v2, v22, vcc_lo
	v_lshlrev_b64 v[25:26], 4, v[54:55]
	v_add_co_u32 v23, vcc_lo, v1, v23
	v_add_co_ci_u32_e32 v24, vcc_lo, v2, v24, vcc_lo
	v_add_co_u32 v25, vcc_lo, v1, v25
	v_add_co_ci_u32_e32 v26, vcc_lo, v2, v26, vcc_lo
	v_cmp_eq_u32_e32 vcc_lo, 0x59, v50
	s_waitcnt lgkmcnt(3)
	global_store_dwordx4 v[19:20], v[3:6], off
	s_waitcnt lgkmcnt(2)
	global_store_dwordx4 v[21:22], v[7:10], off
	;; [unrolled: 2-line block ×4, first 2 shown]
	s_and_b32 exec_lo, exec_lo, vcc_lo
	s_cbranch_execz .LBB0_28
; %bb.27:
	ds_read_b128 v[3:6], v0 offset:12976
	v_add_co_u32 v0, vcc_lo, 0x3800, v1
	v_add_co_ci_u32_e32 v1, vcc_lo, 0, v2, vcc_lo
	s_waitcnt lgkmcnt(0)
	global_store_dwordx4 v[0:1], v[3:6], off offset:64
.LBB0_28:
	s_endpgm
	.section	.rodata,"a",@progbits
	.p2align	6, 0x0
	.amdhsa_kernel fft_rtc_fwd_len900_factors_10_10_3_3_wgs_180_tpt_90_halfLds_dp_op_CI_CI_unitstride_sbrr_R2C_dirReg
		.amdhsa_group_segment_fixed_size 0
		.amdhsa_private_segment_fixed_size 0
		.amdhsa_kernarg_size 104
		.amdhsa_user_sgpr_count 6
		.amdhsa_user_sgpr_private_segment_buffer 1
		.amdhsa_user_sgpr_dispatch_ptr 0
		.amdhsa_user_sgpr_queue_ptr 0
		.amdhsa_user_sgpr_kernarg_segment_ptr 1
		.amdhsa_user_sgpr_dispatch_id 0
		.amdhsa_user_sgpr_flat_scratch_init 0
		.amdhsa_user_sgpr_private_segment_size 0
		.amdhsa_wavefront_size32 1
		.amdhsa_uses_dynamic_stack 0
		.amdhsa_system_sgpr_private_segment_wavefront_offset 0
		.amdhsa_system_sgpr_workgroup_id_x 1
		.amdhsa_system_sgpr_workgroup_id_y 0
		.amdhsa_system_sgpr_workgroup_id_z 0
		.amdhsa_system_sgpr_workgroup_info 0
		.amdhsa_system_vgpr_workitem_id 0
		.amdhsa_next_free_vgpr 111
		.amdhsa_next_free_sgpr 27
		.amdhsa_reserve_vcc 1
		.amdhsa_reserve_flat_scratch 0
		.amdhsa_float_round_mode_32 0
		.amdhsa_float_round_mode_16_64 0
		.amdhsa_float_denorm_mode_32 3
		.amdhsa_float_denorm_mode_16_64 3
		.amdhsa_dx10_clamp 1
		.amdhsa_ieee_mode 1
		.amdhsa_fp16_overflow 0
		.amdhsa_workgroup_processor_mode 1
		.amdhsa_memory_ordered 1
		.amdhsa_forward_progress 0
		.amdhsa_shared_vgpr_count 0
		.amdhsa_exception_fp_ieee_invalid_op 0
		.amdhsa_exception_fp_denorm_src 0
		.amdhsa_exception_fp_ieee_div_zero 0
		.amdhsa_exception_fp_ieee_overflow 0
		.amdhsa_exception_fp_ieee_underflow 0
		.amdhsa_exception_fp_ieee_inexact 0
		.amdhsa_exception_int_div_zero 0
	.end_amdhsa_kernel
	.text
.Lfunc_end0:
	.size	fft_rtc_fwd_len900_factors_10_10_3_3_wgs_180_tpt_90_halfLds_dp_op_CI_CI_unitstride_sbrr_R2C_dirReg, .Lfunc_end0-fft_rtc_fwd_len900_factors_10_10_3_3_wgs_180_tpt_90_halfLds_dp_op_CI_CI_unitstride_sbrr_R2C_dirReg
                                        ; -- End function
	.section	.AMDGPU.csdata,"",@progbits
; Kernel info:
; codeLenInByte = 9572
; NumSgprs: 29
; NumVgprs: 111
; ScratchSize: 0
; MemoryBound: 0
; FloatMode: 240
; IeeeMode: 1
; LDSByteSize: 0 bytes/workgroup (compile time only)
; SGPRBlocks: 3
; VGPRBlocks: 13
; NumSGPRsForWavesPerEU: 29
; NumVGPRsForWavesPerEU: 111
; Occupancy: 9
; WaveLimiterHint : 1
; COMPUTE_PGM_RSRC2:SCRATCH_EN: 0
; COMPUTE_PGM_RSRC2:USER_SGPR: 6
; COMPUTE_PGM_RSRC2:TRAP_HANDLER: 0
; COMPUTE_PGM_RSRC2:TGID_X_EN: 1
; COMPUTE_PGM_RSRC2:TGID_Y_EN: 0
; COMPUTE_PGM_RSRC2:TGID_Z_EN: 0
; COMPUTE_PGM_RSRC2:TIDIG_COMP_CNT: 0
	.text
	.p2alignl 6, 3214868480
	.fill 48, 4, 3214868480
	.type	__hip_cuid_47ced3490f9e5140,@object ; @__hip_cuid_47ced3490f9e5140
	.section	.bss,"aw",@nobits
	.globl	__hip_cuid_47ced3490f9e5140
__hip_cuid_47ced3490f9e5140:
	.byte	0                               ; 0x0
	.size	__hip_cuid_47ced3490f9e5140, 1

	.ident	"AMD clang version 19.0.0git (https://github.com/RadeonOpenCompute/llvm-project roc-6.4.0 25133 c7fe45cf4b819c5991fe208aaa96edf142730f1d)"
	.section	".note.GNU-stack","",@progbits
	.addrsig
	.addrsig_sym __hip_cuid_47ced3490f9e5140
	.amdgpu_metadata
---
amdhsa.kernels:
  - .args:
      - .actual_access:  read_only
        .address_space:  global
        .offset:         0
        .size:           8
        .value_kind:     global_buffer
      - .offset:         8
        .size:           8
        .value_kind:     by_value
      - .actual_access:  read_only
        .address_space:  global
        .offset:         16
        .size:           8
        .value_kind:     global_buffer
      - .actual_access:  read_only
        .address_space:  global
        .offset:         24
        .size:           8
        .value_kind:     global_buffer
      - .actual_access:  read_only
        .address_space:  global
        .offset:         32
        .size:           8
        .value_kind:     global_buffer
      - .offset:         40
        .size:           8
        .value_kind:     by_value
      - .actual_access:  read_only
        .address_space:  global
        .offset:         48
        .size:           8
        .value_kind:     global_buffer
      - .actual_access:  read_only
        .address_space:  global
        .offset:         56
        .size:           8
        .value_kind:     global_buffer
      - .offset:         64
        .size:           4
        .value_kind:     by_value
      - .actual_access:  read_only
        .address_space:  global
        .offset:         72
        .size:           8
        .value_kind:     global_buffer
      - .actual_access:  read_only
        .address_space:  global
        .offset:         80
        .size:           8
        .value_kind:     global_buffer
      - .actual_access:  read_only
        .address_space:  global
        .offset:         88
        .size:           8
        .value_kind:     global_buffer
      - .actual_access:  write_only
        .address_space:  global
        .offset:         96
        .size:           8
        .value_kind:     global_buffer
    .group_segment_fixed_size: 0
    .kernarg_segment_align: 8
    .kernarg_segment_size: 104
    .language:       OpenCL C
    .language_version:
      - 2
      - 0
    .max_flat_workgroup_size: 180
    .name:           fft_rtc_fwd_len900_factors_10_10_3_3_wgs_180_tpt_90_halfLds_dp_op_CI_CI_unitstride_sbrr_R2C_dirReg
    .private_segment_fixed_size: 0
    .sgpr_count:     29
    .sgpr_spill_count: 0
    .symbol:         fft_rtc_fwd_len900_factors_10_10_3_3_wgs_180_tpt_90_halfLds_dp_op_CI_CI_unitstride_sbrr_R2C_dirReg.kd
    .uniform_work_group_size: 1
    .uses_dynamic_stack: false
    .vgpr_count:     111
    .vgpr_spill_count: 0
    .wavefront_size: 32
    .workgroup_processor_mode: 1
amdhsa.target:   amdgcn-amd-amdhsa--gfx1030
amdhsa.version:
  - 1
  - 2
...

	.end_amdgpu_metadata
